;; amdgpu-corpus repo=ROCm/rocFFT kind=compiled arch=gfx1201 opt=O3
	.text
	.amdgcn_target "amdgcn-amd-amdhsa--gfx1201"
	.amdhsa_code_object_version 6
	.protected	fft_rtc_back_len728_factors_13_7_8_wgs_104_tpt_104_halfLds_half_ip_CI_sbrr_dirReg ; -- Begin function fft_rtc_back_len728_factors_13_7_8_wgs_104_tpt_104_halfLds_half_ip_CI_sbrr_dirReg
	.globl	fft_rtc_back_len728_factors_13_7_8_wgs_104_tpt_104_halfLds_half_ip_CI_sbrr_dirReg
	.p2align	8
	.type	fft_rtc_back_len728_factors_13_7_8_wgs_104_tpt_104_halfLds_half_ip_CI_sbrr_dirReg,@function
fft_rtc_back_len728_factors_13_7_8_wgs_104_tpt_104_halfLds_half_ip_CI_sbrr_dirReg: ; @fft_rtc_back_len728_factors_13_7_8_wgs_104_tpt_104_halfLds_half_ip_CI_sbrr_dirReg
; %bb.0:
	s_clause 0x2
	s_load_b64 s[12:13], s[0:1], 0x18
	s_load_b128 s[4:7], s[0:1], 0x0
	s_load_b64 s[10:11], s[0:1], 0x50
	v_mul_u32_u24_e32 v1, 0x277, v0
	v_mov_b32_e32 v3, 0
	s_delay_alu instid0(VALU_DEP_2) | instskip(NEXT) | instid1(VALU_DEP_1)
	v_lshrrev_b32_e32 v1, 16, v1
	v_add_nc_u32_e32 v5, ttmp9, v1
	v_mov_b32_e32 v1, 0
	v_mov_b32_e32 v2, 0
	;; [unrolled: 1-line block ×3, first 2 shown]
	s_wait_kmcnt 0x0
	s_load_b64 s[8:9], s[12:13], 0x0
	v_cmp_lt_u64_e64 s2, s[6:7], 2
	s_delay_alu instid0(VALU_DEP_1)
	s_and_b32 vcc_lo, exec_lo, s2
	s_cbranch_vccnz .LBB0_8
; %bb.1:
	s_load_b64 s[2:3], s[0:1], 0x10
	v_mov_b32_e32 v1, 0
	v_mov_b32_e32 v2, 0
	s_add_nc_u64 s[14:15], s[12:13], 8
	s_mov_b64 s[16:17], 1
	s_wait_kmcnt 0x0
	s_add_nc_u64 s[18:19], s[2:3], 8
	s_mov_b32 s3, 0
.LBB0_2:                                ; =>This Inner Loop Header: Depth=1
	s_load_b64 s[20:21], s[18:19], 0x0
                                        ; implicit-def: $vgpr7_vgpr8
	s_mov_b32 s2, exec_lo
	s_wait_kmcnt 0x0
	v_or_b32_e32 v4, s21, v6
	s_delay_alu instid0(VALU_DEP_1)
	v_cmpx_ne_u64_e32 0, v[3:4]
	s_wait_alu 0xfffe
	s_xor_b32 s22, exec_lo, s2
	s_cbranch_execz .LBB0_4
; %bb.3:                                ;   in Loop: Header=BB0_2 Depth=1
	s_cvt_f32_u32 s2, s20
	s_cvt_f32_u32 s23, s21
	s_sub_nc_u64 s[26:27], 0, s[20:21]
	s_wait_alu 0xfffe
	s_delay_alu instid0(SALU_CYCLE_1) | instskip(SKIP_1) | instid1(SALU_CYCLE_2)
	s_fmamk_f32 s2, s23, 0x4f800000, s2
	s_wait_alu 0xfffe
	v_s_rcp_f32 s2, s2
	s_delay_alu instid0(TRANS32_DEP_1) | instskip(SKIP_1) | instid1(SALU_CYCLE_2)
	s_mul_f32 s2, s2, 0x5f7ffffc
	s_wait_alu 0xfffe
	s_mul_f32 s23, s2, 0x2f800000
	s_wait_alu 0xfffe
	s_delay_alu instid0(SALU_CYCLE_2) | instskip(SKIP_1) | instid1(SALU_CYCLE_2)
	s_trunc_f32 s23, s23
	s_wait_alu 0xfffe
	s_fmamk_f32 s2, s23, 0xcf800000, s2
	s_cvt_u32_f32 s25, s23
	s_wait_alu 0xfffe
	s_delay_alu instid0(SALU_CYCLE_1) | instskip(SKIP_1) | instid1(SALU_CYCLE_2)
	s_cvt_u32_f32 s24, s2
	s_wait_alu 0xfffe
	s_mul_u64 s[28:29], s[26:27], s[24:25]
	s_wait_alu 0xfffe
	s_mul_hi_u32 s31, s24, s29
	s_mul_i32 s30, s24, s29
	s_mul_hi_u32 s2, s24, s28
	s_mul_i32 s33, s25, s28
	s_wait_alu 0xfffe
	s_add_nc_u64 s[30:31], s[2:3], s[30:31]
	s_mul_hi_u32 s23, s25, s28
	s_mul_hi_u32 s34, s25, s29
	s_add_co_u32 s2, s30, s33
	s_wait_alu 0xfffe
	s_add_co_ci_u32 s2, s31, s23
	s_mul_i32 s28, s25, s29
	s_add_co_ci_u32 s29, s34, 0
	s_wait_alu 0xfffe
	s_add_nc_u64 s[28:29], s[2:3], s[28:29]
	s_wait_alu 0xfffe
	v_add_co_u32 v4, s2, s24, s28
	s_delay_alu instid0(VALU_DEP_1) | instskip(SKIP_1) | instid1(VALU_DEP_1)
	s_cmp_lg_u32 s2, 0
	s_add_co_ci_u32 s25, s25, s29
	v_readfirstlane_b32 s24, v4
	s_wait_alu 0xfffe
	s_delay_alu instid0(VALU_DEP_1)
	s_mul_u64 s[26:27], s[26:27], s[24:25]
	s_wait_alu 0xfffe
	s_mul_hi_u32 s29, s24, s27
	s_mul_i32 s28, s24, s27
	s_mul_hi_u32 s2, s24, s26
	s_mul_i32 s30, s25, s26
	s_wait_alu 0xfffe
	s_add_nc_u64 s[28:29], s[2:3], s[28:29]
	s_mul_hi_u32 s23, s25, s26
	s_mul_hi_u32 s24, s25, s27
	s_wait_alu 0xfffe
	s_add_co_u32 s2, s28, s30
	s_add_co_ci_u32 s2, s29, s23
	s_mul_i32 s26, s25, s27
	s_add_co_ci_u32 s27, s24, 0
	s_wait_alu 0xfffe
	s_add_nc_u64 s[26:27], s[2:3], s[26:27]
	s_wait_alu 0xfffe
	v_add_co_u32 v4, s2, v4, s26
	s_delay_alu instid0(VALU_DEP_1) | instskip(SKIP_1) | instid1(VALU_DEP_1)
	s_cmp_lg_u32 s2, 0
	s_add_co_ci_u32 s2, s25, s27
	v_mul_hi_u32 v13, v5, v4
	s_wait_alu 0xfffe
	v_mad_co_u64_u32 v[7:8], null, v5, s2, 0
	v_mad_co_u64_u32 v[9:10], null, v6, v4, 0
	;; [unrolled: 1-line block ×3, first 2 shown]
	s_delay_alu instid0(VALU_DEP_3) | instskip(SKIP_1) | instid1(VALU_DEP_4)
	v_add_co_u32 v4, vcc_lo, v13, v7
	s_wait_alu 0xfffd
	v_add_co_ci_u32_e32 v7, vcc_lo, 0, v8, vcc_lo
	s_delay_alu instid0(VALU_DEP_2) | instskip(SKIP_1) | instid1(VALU_DEP_2)
	v_add_co_u32 v4, vcc_lo, v4, v9
	s_wait_alu 0xfffd
	v_add_co_ci_u32_e32 v4, vcc_lo, v7, v10, vcc_lo
	s_wait_alu 0xfffd
	v_add_co_ci_u32_e32 v7, vcc_lo, 0, v12, vcc_lo
	s_delay_alu instid0(VALU_DEP_2) | instskip(SKIP_1) | instid1(VALU_DEP_2)
	v_add_co_u32 v4, vcc_lo, v4, v11
	s_wait_alu 0xfffd
	v_add_co_ci_u32_e32 v9, vcc_lo, 0, v7, vcc_lo
	s_delay_alu instid0(VALU_DEP_2) | instskip(SKIP_1) | instid1(VALU_DEP_3)
	v_mul_lo_u32 v10, s21, v4
	v_mad_co_u64_u32 v[7:8], null, s20, v4, 0
	v_mul_lo_u32 v11, s20, v9
	s_delay_alu instid0(VALU_DEP_2) | instskip(NEXT) | instid1(VALU_DEP_2)
	v_sub_co_u32 v7, vcc_lo, v5, v7
	v_add3_u32 v8, v8, v11, v10
	s_delay_alu instid0(VALU_DEP_1) | instskip(SKIP_1) | instid1(VALU_DEP_1)
	v_sub_nc_u32_e32 v10, v6, v8
	s_wait_alu 0xfffd
	v_subrev_co_ci_u32_e64 v10, s2, s21, v10, vcc_lo
	v_add_co_u32 v11, s2, v4, 2
	s_wait_alu 0xf1ff
	v_add_co_ci_u32_e64 v12, s2, 0, v9, s2
	v_sub_co_u32 v13, s2, v7, s20
	v_sub_co_ci_u32_e32 v8, vcc_lo, v6, v8, vcc_lo
	s_wait_alu 0xf1ff
	v_subrev_co_ci_u32_e64 v10, s2, 0, v10, s2
	s_delay_alu instid0(VALU_DEP_3) | instskip(NEXT) | instid1(VALU_DEP_3)
	v_cmp_le_u32_e32 vcc_lo, s20, v13
	v_cmp_eq_u32_e64 s2, s21, v8
	s_wait_alu 0xfffd
	v_cndmask_b32_e64 v13, 0, -1, vcc_lo
	v_cmp_le_u32_e32 vcc_lo, s21, v10
	s_wait_alu 0xfffd
	v_cndmask_b32_e64 v14, 0, -1, vcc_lo
	v_cmp_le_u32_e32 vcc_lo, s20, v7
	;; [unrolled: 3-line block ×3, first 2 shown]
	s_wait_alu 0xfffd
	v_cndmask_b32_e64 v15, 0, -1, vcc_lo
	v_cmp_eq_u32_e32 vcc_lo, s21, v10
	s_wait_alu 0xf1ff
	s_delay_alu instid0(VALU_DEP_2)
	v_cndmask_b32_e64 v7, v15, v7, s2
	s_wait_alu 0xfffd
	v_cndmask_b32_e32 v10, v14, v13, vcc_lo
	v_add_co_u32 v13, vcc_lo, v4, 1
	s_wait_alu 0xfffd
	v_add_co_ci_u32_e32 v14, vcc_lo, 0, v9, vcc_lo
	s_delay_alu instid0(VALU_DEP_3) | instskip(SKIP_2) | instid1(VALU_DEP_3)
	v_cmp_ne_u32_e32 vcc_lo, 0, v10
	s_wait_alu 0xfffd
	v_cndmask_b32_e32 v10, v13, v11, vcc_lo
	v_cndmask_b32_e32 v8, v14, v12, vcc_lo
	v_cmp_ne_u32_e32 vcc_lo, 0, v7
	s_wait_alu 0xfffd
	s_delay_alu instid0(VALU_DEP_2)
	v_dual_cndmask_b32 v7, v4, v10 :: v_dual_cndmask_b32 v8, v9, v8
.LBB0_4:                                ;   in Loop: Header=BB0_2 Depth=1
	s_wait_alu 0xfffe
	s_and_not1_saveexec_b32 s2, s22
	s_cbranch_execz .LBB0_6
; %bb.5:                                ;   in Loop: Header=BB0_2 Depth=1
	v_cvt_f32_u32_e32 v4, s20
	s_sub_co_i32 s22, 0, s20
	s_delay_alu instid0(VALU_DEP_1) | instskip(NEXT) | instid1(TRANS32_DEP_1)
	v_rcp_iflag_f32_e32 v4, v4
	v_mul_f32_e32 v4, 0x4f7ffffe, v4
	s_delay_alu instid0(VALU_DEP_1) | instskip(SKIP_1) | instid1(VALU_DEP_1)
	v_cvt_u32_f32_e32 v4, v4
	s_wait_alu 0xfffe
	v_mul_lo_u32 v7, s22, v4
	s_delay_alu instid0(VALU_DEP_1) | instskip(NEXT) | instid1(VALU_DEP_1)
	v_mul_hi_u32 v7, v4, v7
	v_add_nc_u32_e32 v4, v4, v7
	s_delay_alu instid0(VALU_DEP_1) | instskip(NEXT) | instid1(VALU_DEP_1)
	v_mul_hi_u32 v4, v5, v4
	v_mul_lo_u32 v7, v4, s20
	v_add_nc_u32_e32 v8, 1, v4
	s_delay_alu instid0(VALU_DEP_2) | instskip(NEXT) | instid1(VALU_DEP_1)
	v_sub_nc_u32_e32 v7, v5, v7
	v_subrev_nc_u32_e32 v9, s20, v7
	v_cmp_le_u32_e32 vcc_lo, s20, v7
	s_wait_alu 0xfffd
	s_delay_alu instid0(VALU_DEP_2) | instskip(NEXT) | instid1(VALU_DEP_1)
	v_dual_cndmask_b32 v7, v7, v9 :: v_dual_cndmask_b32 v4, v4, v8
	v_cmp_le_u32_e32 vcc_lo, s20, v7
	s_delay_alu instid0(VALU_DEP_2) | instskip(SKIP_1) | instid1(VALU_DEP_1)
	v_add_nc_u32_e32 v8, 1, v4
	s_wait_alu 0xfffd
	v_dual_cndmask_b32 v7, v4, v8 :: v_dual_mov_b32 v8, v3
.LBB0_6:                                ;   in Loop: Header=BB0_2 Depth=1
	s_wait_alu 0xfffe
	s_or_b32 exec_lo, exec_lo, s2
	s_load_b64 s[22:23], s[14:15], 0x0
	s_delay_alu instid0(VALU_DEP_1)
	v_mul_lo_u32 v4, v8, s20
	v_mul_lo_u32 v11, v7, s21
	v_mad_co_u64_u32 v[9:10], null, v7, s20, 0
	s_add_nc_u64 s[16:17], s[16:17], 1
	s_add_nc_u64 s[14:15], s[14:15], 8
	s_wait_alu 0xfffe
	v_cmp_ge_u64_e64 s2, s[16:17], s[6:7]
	s_add_nc_u64 s[18:19], s[18:19], 8
	s_delay_alu instid0(VALU_DEP_2) | instskip(NEXT) | instid1(VALU_DEP_3)
	v_add3_u32 v4, v10, v11, v4
	v_sub_co_u32 v5, vcc_lo, v5, v9
	s_wait_alu 0xfffd
	s_delay_alu instid0(VALU_DEP_2) | instskip(SKIP_3) | instid1(VALU_DEP_2)
	v_sub_co_ci_u32_e32 v4, vcc_lo, v6, v4, vcc_lo
	s_and_b32 vcc_lo, exec_lo, s2
	s_wait_kmcnt 0x0
	v_mul_lo_u32 v6, s23, v5
	v_mul_lo_u32 v4, s22, v4
	v_mad_co_u64_u32 v[1:2], null, s22, v5, v[1:2]
	s_delay_alu instid0(VALU_DEP_1)
	v_add3_u32 v2, v6, v2, v4
	s_wait_alu 0xfffe
	s_cbranch_vccnz .LBB0_9
; %bb.7:                                ;   in Loop: Header=BB0_2 Depth=1
	v_dual_mov_b32 v5, v7 :: v_dual_mov_b32 v6, v8
	s_branch .LBB0_2
.LBB0_8:
	v_dual_mov_b32 v8, v6 :: v_dual_mov_b32 v7, v5
.LBB0_9:
	s_lshl_b64 s[2:3], s[6:7], 3
	v_mul_hi_u32 v5, 0x2762763, v0
	s_wait_alu 0xfffe
	s_add_nc_u64 s[2:3], s[12:13], s[2:3]
	v_mov_b32_e32 v13, 0
	s_load_b64 s[2:3], s[2:3], 0x0
	s_load_b64 s[0:1], s[0:1], 0x20
	v_mov_b32_e32 v27, 0
                                        ; implicit-def: $vgpr18
                                        ; implicit-def: $vgpr22
                                        ; implicit-def: $vgpr17
                                        ; implicit-def: $vgpr23
                                        ; implicit-def: $vgpr16
                                        ; implicit-def: $vgpr20
                                        ; implicit-def: $vgpr15
                                        ; implicit-def: $vgpr21
                                        ; implicit-def: $vgpr14
                                        ; implicit-def: $vgpr12
                                        ; implicit-def: $vgpr11
                                        ; implicit-def: $vgpr10
                                        ; implicit-def: $vgpr19
                                        ; implicit-def: $vgpr29
                                        ; implicit-def: $vgpr28
                                        ; implicit-def: $vgpr26
                                        ; implicit-def: $vgpr25
                                        ; implicit-def: $vgpr24
	s_wait_kmcnt 0x0
	v_mul_lo_u32 v6, s2, v8
	v_mul_lo_u32 v9, s3, v7
	v_mad_co_u64_u32 v[3:4], null, s2, v7, v[1:2]
	v_mul_u32_u24_e32 v1, 0x68, v5
	v_cmp_gt_u64_e32 vcc_lo, s[0:1], v[7:8]
                                        ; implicit-def: $vgpr5
                                        ; implicit-def: $vgpr7
                                        ; implicit-def: $vgpr8
	s_delay_alu instid0(VALU_DEP_2) | instskip(NEXT) | instid1(VALU_DEP_4)
	v_sub_nc_u32_e32 v2, v0, v1
	v_add3_u32 v4, v9, v4, v6
                                        ; implicit-def: $vgpr6
                                        ; implicit-def: $vgpr9
	s_delay_alu instid0(VALU_DEP_2) | instskip(NEXT) | instid1(VALU_DEP_2)
	v_cmp_gt_u32_e64 s0, 56, v2
	v_lshlrev_b64_e32 v[0:1], 2, v[3:4]
                                        ; implicit-def: $vgpr4
	s_delay_alu instid0(VALU_DEP_2)
	s_and_b32 s1, vcc_lo, s0
	s_wait_alu 0xfffe
	s_and_saveexec_b32 s2, s1
	s_cbranch_execz .LBB0_11
; %bb.10:
	v_add_nc_u32_e32 v10, 56, v2
	v_mad_co_u64_u32 v[3:4], null, s8, v2, 0
	v_add_nc_u32_e32 v16, 0xe0, v2
	v_add_co_u32 v36, s1, s10, v0
	s_delay_alu instid0(VALU_DEP_4)
	v_mad_co_u64_u32 v[5:6], null, s8, v10, 0
	s_wait_alu 0xf1ff
	v_add_co_ci_u32_e64 v37, s1, s11, v1, s1
	v_add_nc_u32_e32 v22, 0x188, v2
	v_add_nc_u32_e32 v15, 0xa8, v2
	;; [unrolled: 1-line block ×4, first 2 shown]
	v_mad_co_u64_u32 v[7:8], null, s9, v2, v[4:5]
	v_mov_b32_e32 v4, v6
	s_delay_alu instid0(VALU_DEP_4) | instskip(SKIP_1) | instid1(VALU_DEP_3)
	v_mad_co_u64_u32 v[17:18], null, s8, v21, 0
	v_mad_co_u64_u32 v[19:20], null, s8, v22, 0
	;; [unrolled: 1-line block ×3, first 2 shown]
	v_mov_b32_e32 v4, v7
	v_mad_co_u64_u32 v[30:31], null, s8, v23, 0
	s_delay_alu instid0(VALU_DEP_3) | instskip(SKIP_2) | instid1(VALU_DEP_3)
	v_mov_b32_e32 v6, v10
	v_mad_co_u64_u32 v[10:11], null, s8, v15, 0
	v_add_nc_u32_e32 v12, 0x70, v2
	v_lshlrev_b64_e32 v[5:6], 2, v[5:6]
	s_delay_alu instid0(VALU_DEP_2) | instskip(NEXT) | instid1(VALU_DEP_1)
	v_mad_co_u64_u32 v[8:9], null, s8, v12, 0
	v_mov_b32_e32 v7, v9
	s_delay_alu instid0(VALU_DEP_1) | instskip(SKIP_2) | instid1(VALU_DEP_3)
	v_mad_co_u64_u32 v[12:13], null, s9, v12, v[7:8]
	v_mov_b32_e32 v7, v11
	v_mad_co_u64_u32 v[13:14], null, s8, v16, 0
	v_mov_b32_e32 v9, v12
	s_delay_alu instid0(VALU_DEP_3) | instskip(SKIP_1) | instid1(VALU_DEP_4)
	v_mad_co_u64_u32 v[11:12], null, s9, v15, v[7:8]
	v_lshlrev_b64_e32 v[3:4], 2, v[3:4]
	v_mov_b32_e32 v7, v14
	s_delay_alu instid0(VALU_DEP_4) | instskip(SKIP_1) | instid1(VALU_DEP_4)
	v_lshlrev_b64_e32 v[8:9], 2, v[8:9]
	v_add_nc_u32_e32 v12, 0x118, v2
	v_add_co_u32 v3, s1, v36, v3
	s_delay_alu instid0(VALU_DEP_3) | instskip(NEXT) | instid1(VALU_DEP_3)
	v_mad_co_u64_u32 v[14:15], null, s9, v16, v[7:8]
	v_mad_co_u64_u32 v[15:16], null, s8, v12, 0
	s_wait_alu 0xf1ff
	v_add_co_ci_u32_e64 v4, s1, v37, v4, s1
	v_add_co_u32 v5, s1, v36, v5
	s_wait_alu 0xf1ff
	v_add_co_ci_u32_e64 v6, s1, v37, v6, s1
	v_add_co_u32 v7, s1, v36, v8
	s_wait_alu 0xf1ff
	v_add_co_ci_u32_e64 v8, s1, v37, v9, s1
	v_lshlrev_b64_e32 v[9:10], 2, v[10:11]
	v_mov_b32_e32 v11, v16
	v_lshlrev_b64_e32 v[13:14], 2, v[13:14]
	s_delay_alu instid0(VALU_DEP_2)
	v_mad_co_u64_u32 v[11:12], null, s9, v12, v[11:12]
	v_mov_b32_e32 v12, v18
	v_mov_b32_e32 v18, v20
	v_add_co_u32 v9, s1, v36, v9
	s_wait_alu 0xf1ff
	v_add_co_ci_u32_e64 v10, s1, v37, v10, s1
	v_mov_b32_e32 v16, v11
	v_mad_co_u64_u32 v[11:12], null, s9, v21, v[12:13]
	v_mad_co_u64_u32 v[20:21], null, s9, v22, v[18:19]
	v_or_b32_e32 v21, 0x1c0, v2
	v_add_nc_u32_e32 v22, 0x1f8, v2
	v_add_co_u32 v12, s1, v36, v13
	v_mov_b32_e32 v18, v11
	s_delay_alu instid0(VALU_DEP_4) | instskip(NEXT) | instid1(VALU_DEP_4)
	v_mad_co_u64_u32 v[24:25], null, s8, v21, 0
	v_mad_co_u64_u32 v[28:29], null, s8, v22, 0
	s_wait_alu 0xf1ff
	v_add_co_ci_u32_e64 v13, s1, v37, v14, s1
	v_lshlrev_b64_e32 v[14:15], 2, v[15:16]
	v_lshlrev_b64_e32 v[16:17], 2, v[17:18]
	v_mov_b32_e32 v11, v25
	v_lshlrev_b64_e32 v[18:19], 2, v[19:20]
	s_delay_alu instid0(VALU_DEP_4) | instskip(NEXT) | instid1(VALU_DEP_3)
	v_add_co_u32 v14, s1, v36, v14
	v_mad_co_u64_u32 v[20:21], null, s9, v21, v[11:12]
	v_mov_b32_e32 v11, v29
	s_wait_alu 0xf1ff
	v_add_co_ci_u32_e64 v15, s1, v37, v15, s1
	v_add_co_u32 v16, s1, v36, v16
	s_delay_alu instid0(VALU_DEP_3)
	v_mad_co_u64_u32 v[26:27], null, s9, v22, v[11:12]
	v_add_nc_u32_e32 v11, 0x268, v2
	v_dual_mov_b32 v25, v20 :: v_dual_mov_b32 v20, v31
	s_wait_alu 0xf1ff
	v_add_co_ci_u32_e64 v17, s1, v37, v17, s1
	v_add_co_u32 v18, s1, v36, v18
	v_mov_b32_e32 v29, v26
	s_wait_alu 0xf1ff
	v_add_co_ci_u32_e64 v19, s1, v37, v19, s1
	v_mad_co_u64_u32 v[31:32], null, s9, v23, v[20:21]
	s_clause 0x7
	global_load_b32 v27, v[3:4], off
	global_load_b32 v22, v[5:6], off
	;; [unrolled: 1-line block ×8, first 2 shown]
	v_mad_co_u64_u32 v[32:33], null, s8, v11, 0
	v_lshlrev_b64_e32 v[6:7], 2, v[24:25]
	v_lshlrev_b64_e32 v[8:9], 2, v[28:29]
	;; [unrolled: 1-line block ×3, first 2 shown]
	s_delay_alu instid0(VALU_DEP_4) | instskip(NEXT) | instid1(VALU_DEP_4)
	v_mov_b32_e32 v3, v33
	v_add_co_u32 v6, s1, v36, v6
	s_wait_alu 0xf1ff
	v_add_co_ci_u32_e64 v7, s1, v37, v7, s1
	s_delay_alu instid0(VALU_DEP_3) | instskip(NEXT) | instid1(VALU_DEP_1)
	v_mad_co_u64_u32 v[3:4], null, s9, v11, v[3:4]
	v_dual_mov_b32 v33, v3 :: v_dual_add_nc_u32 v38, 0x2a0, v2
	s_delay_alu instid0(VALU_DEP_1) | instskip(SKIP_1) | instid1(VALU_DEP_2)
	v_mad_co_u64_u32 v[34:35], null, s8, v38, 0
	v_add_co_u32 v3, s1, v36, v8
	v_mov_b32_e32 v4, v35
	s_wait_loadcnt 0x6
	v_lshrrev_b32_e32 v18, 16, v22
	s_wait_loadcnt 0x5
	v_lshrrev_b32_e32 v17, 16, v23
	;; [unrolled: 2-line block ×4, first 2 shown]
	s_wait_loadcnt 0x1
	v_mad_co_u64_u32 v[10:11], null, s9, v38, v[4:5]
	s_wait_alu 0xf1ff
	v_add_co_ci_u32_e64 v4, s1, v37, v9, s1
	v_lshlrev_b64_e32 v[8:9], 2, v[32:33]
	s_delay_alu instid0(VALU_DEP_3) | instskip(SKIP_3) | instid1(VALU_DEP_3)
	v_mov_b32_e32 v35, v10
	v_add_co_u32 v10, s1, v36, v13
	s_wait_alu 0xf1ff
	v_add_co_ci_u32_e64 v11, s1, v37, v14, s1
	v_lshlrev_b64_e32 v[13:14], 2, v[34:35]
	v_add_co_u32 v8, s1, v36, v8
	s_wait_alu 0xf1ff
	v_add_co_ci_u32_e64 v9, s1, v37, v9, s1
	s_delay_alu instid0(VALU_DEP_3)
	v_add_co_u32 v13, s1, v36, v13
	s_wait_alu 0xf1ff
	v_add_co_ci_u32_e64 v14, s1, v37, v14, s1
	s_clause 0x4
	global_load_b32 v24, v[6:7], off
	global_load_b32 v25, v[3:4], off
	;; [unrolled: 1-line block ×5, first 2 shown]
	v_lshrrev_b32_e32 v13, 16, v27
	v_lshrrev_b32_e32 v14, 16, v12
	;; [unrolled: 1-line block ×3, first 2 shown]
	s_wait_loadcnt 0x5
	v_lshrrev_b32_e32 v10, 16, v19
	s_wait_loadcnt 0x4
	v_lshrrev_b32_e32 v9, 16, v24
	;; [unrolled: 2-line block ×6, first 2 shown]
.LBB0_11:
	s_wait_alu 0xfffe
	s_or_b32 exec_lo, exec_lo, s2
	s_delay_alu instid0(VALU_DEP_1)
	v_sub_f16_e32 v36, v18, v4
	v_add_f16_e32 v30, v22, v29
	v_sub_f16_e32 v33, v17, v6
	v_add_f16_e32 v31, v23, v28
	v_sub_f16_e32 v34, v16, v7
	v_mul_f16_e32 v46, 0xb3a8, v36
	v_add_f16_e32 v32, v20, v26
	v_mul_f16_e32 v44, 0x3770, v33
	v_sub_f16_e32 v37, v15, v8
	v_mul_f16_e32 v45, 0xb94e, v34
	v_fma_f16 v3, v30, 0xbbc4, -v46
	v_add_f16_e32 v35, v21, v25
	v_fma_f16 v38, v31, 0x3b15, -v44
	v_sub_f16_e32 v39, v14, v9
	v_mul_f16_e32 v47, 0x3a95, v37
	v_add_f16_e32 v3, v27, v3
	v_fma_f16 v40, v32, 0xb9fd, -v45
	v_sub_f16_e32 v41, v11, v10
	v_mul_f16_e32 v43, 0xbb7b, v39
	v_fma_f16 v42, v35, 0x388b, -v47
	v_add_f16_e32 v3, v3, v38
	v_add_f16_e32 v38, v12, v24
	s_delay_alu instid0(VALU_DEP_2) | instskip(SKIP_1) | instid1(VALU_DEP_3)
	v_add_f16_e32 v3, v3, v40
	v_add_f16_e32 v40, v5, v19
	v_fma_f16 v48, v38, 0xb5ac, -v43
	s_delay_alu instid0(VALU_DEP_3) | instskip(SKIP_1) | instid1(VALU_DEP_2)
	v_add_f16_e32 v3, v3, v42
	v_mul_f16_e32 v42, 0x3bf1, v41
	v_add_f16_e32 v3, v3, v48
	s_delay_alu instid0(VALU_DEP_2) | instskip(NEXT) | instid1(VALU_DEP_1)
	v_fma_f16 v48, v40, 0x2fb7, -v42
	v_add_f16_e32 v3, v48, v3
	s_and_saveexec_b32 s1, s0
	s_cbranch_execz .LBB0_13
; %bb.12:
	v_pk_mul_f16 v71, 0x388b3b15, v30 op_sel_hi:[1,0]
	v_pk_mul_f16 v76, 0xb5ac388b, v31 op_sel_hi:[1,0]
	;; [unrolled: 1-line block ×5, first 2 shown]
	v_fmamk_f16 v75, v36, 0x3770, v71
	v_fmamk_f16 v79, v33, 0x3a95, v76
	v_pk_fma_f16 v71, 0xba95b770, v36, v71 op_sel_hi:[1,0,1]
	v_add_f16_e32 v55, v27, v22
	v_mul_f16_e32 v48, 0xbbc4, v30
	v_add_f16_e32 v75, v27, v75
	v_mul_f16_e32 v54, 0xb9fd, v30
	v_mul_f16_e32 v56, 0xb94e, v36
	v_pk_mul_f16 v67, 0xb5ac2fb7, v30 op_sel_hi:[1,0]
	v_pk_add_f16 v71, v27, v71 op_sel_hi:[0,1]
	v_add_f16_e32 v75, v75, v79
	v_fmamk_f16 v79, v34, 0x3bf1, v80
	v_pk_fma_f16 v76, 0xbb7bba95, v33, v76 op_sel_hi:[1,0,1]
	v_add_f16_e32 v55, v55, v23
	v_mul_f16_e32 v49, 0x3b15, v31
	v_mul_f16_e32 v57, 0x2fb7, v31
	v_add_f16_e32 v75, v75, v79
	v_fmamk_f16 v79, v37, 0x3b7b, v83
	v_mul_f16_e32 v58, 0x3bf1, v33
	v_pk_mul_f16 v69, 0xb9fdbbc4, v31 op_sel_hi:[1,0]
	v_pk_add_f16 v71, v71, v76
	v_pk_fma_f16 v76, 0xb3a8bbf1, v34, v80 op_sel_hi:[1,0,1]
	v_add_f16_e32 v75, v75, v79
	v_fmamk_f16 v79, v39, 0x394e, v85
	v_perm_b32 v46, v46, v56, 0x5040100
	v_perm_b32 v48, v48, v54, 0x5040100
	v_add_f16_e32 v55, v55, v20
	v_mul_f16_e32 v50, 0xb9fd, v32
	v_add_f16_e32 v75, v75, v79
	v_pk_fma_f16 v79, 0xbb7bbbf1, v36, v67 op_sel_hi:[1,0,1]
	v_mul_f16_e32 v59, 0x388b, v32
	v_mul_f16_e32 v60, 0xba95, v34
	v_pk_mul_f16 v72, 0x3b15b5ac, v32 op_sel_hi:[1,0]
	v_pk_add_f16 v71, v71, v76
	v_pk_fma_f16 v76, 0x394ebb7b, v37, v83 op_sel_hi:[1,0,1]
	v_pk_add_f16 v79, v27, v79 op_sel_hi:[0,1]
	v_pk_fma_f16 v83, 0x394eb3a8, v33, v69 op_sel_hi:[1,0,1]
	v_pk_add_f16 v46, v46, v48
	v_perm_b32 v44, v44, v58, 0x5040100
	v_perm_b32 v48, v49, v57, 0x5040100
	v_add_f16_e32 v55, v55, v21
	v_mul_f16_e32 v51, 0x388b, v35
	v_mul_f16_e32 v61, 0xbbc4, v35
	;; [unrolled: 1-line block ×3, first 2 shown]
	v_pk_mul_f16 v74, 0x2fb73b15, v35 op_sel_hi:[1,0]
	v_pk_add_f16 v71, v71, v76
	v_pk_add_f16 v76, v79, v83
	v_pk_fma_f16 v79, 0x37703b7b, v34, v72 op_sel_hi:[1,0,1]
	v_pk_add_f16 v46, v27, v46 op_sel_hi:[0,1]
	v_pk_add_f16 v44, v44, v48
	v_perm_b32 v45, v45, v60, 0x5040100
	v_perm_b32 v48, v50, v59, 0x5040100
	v_add_f16_e32 v55, v55, v12
	v_mul_f16_e32 v52, 0xb5ac, v38
	v_mul_f16_e32 v63, 0x3b15, v38
	;; [unrolled: 1-line block ×3, first 2 shown]
	v_pk_mul_f16 v68, 0xbb7bbbf1, v36 op_sel_hi:[1,0]
	v_pk_mul_f16 v78, 0xbbc4388b, v38 op_sel_hi:[1,0]
	;; [unrolled: 1-line block ×3, first 2 shown]
	v_pk_fma_f16 v49, 0x3bf1b94e, v39, v85 op_sel_hi:[1,0,1]
	v_pk_add_f16 v76, v76, v79
	v_pk_fma_f16 v79, 0xbbf13770, v37, v74 op_sel_hi:[1,0,1]
	v_pk_add_f16 v44, v46, v44
	v_pk_add_f16 v45, v45, v48
	v_perm_b32 v46, v47, v62, 0x5040100
	v_perm_b32 v47, v51, v61, 0x5040100
	v_add_f16_e32 v55, v55, v5
	v_pk_mul_f16 v70, 0x394eb3a8, v33 op_sel_hi:[1,0]
	v_pk_mul_f16 v82, 0x388bb9fd, v40 op_sel_hi:[1,0]
	v_pk_add_f16 v49, v71, v49
	v_pk_add_f16 v50, v76, v79
	v_pk_fma_f16 v71, 0x33a8ba95, v39, v78 op_sel_hi:[1,0,1]
	v_pk_fma_f16 v48, 0x3770b3a8, v41, v86 op_sel_hi:[1,0,1]
	v_pk_add_f16 v44, v44, v45
	v_pk_add_f16 v45, v46, v47
	v_perm_b32 v43, v43, v64, 0x5040100
	v_perm_b32 v46, v52, v63, 0x5040100
	v_bfi_b32 v47, 0xffff, v54, v67
	v_bfi_b32 v52, 0xffff, v56, v68
	v_pk_mul_f16 v36, 0x3a953bf1, v36 op_sel_hi:[1,0]
	v_add_f16_e32 v55, v55, v19
	v_mul_f16_e32 v53, 0x2fb7, v40
	v_mul_f16_e32 v65, 0xb5ac, v40
	;; [unrolled: 1-line block ×3, first 2 shown]
	v_pk_mul_f16 v73, 0x37703b7b, v34 op_sel_hi:[1,0]
	v_pk_add_f16 v50, v50, v71
	v_pk_fma_f16 v51, 0x3a95b94e, v41, v82 op_sel_hi:[1,0,1]
	v_pk_add_f16 v48, v48, v49
	v_pk_add_f16 v44, v44, v45
	;; [unrolled: 1-line block ×3, first 2 shown]
	v_pk_add_f16 v46, v47, v52 neg_lo:[0,1] neg_hi:[0,1]
	v_bfi_b32 v47, 0xffff, v57, v69
	v_bfi_b32 v49, 0xffff, v58, v70
	v_pk_fma_f16 v30, 0x388b2fb7, v30, v36 op_sel_hi:[1,0,1]
	v_pk_mul_f16 v33, 0x3b7b33a8, v33 op_sel_hi:[1,0]
	v_add_f16_e32 v55, v55, v24
	v_pk_mul_f16 v77, 0xbbf13770, v37 op_sel_hi:[1,0]
	v_pk_add_f16 v45, v51, v50
	v_pk_add_f16 v43, v44, v43
	v_perm_b32 v42, v42, v66, 0x5040100
	v_perm_b32 v44, v53, v65, 0x5040100
	v_pk_add_f16 v46, v27, v46 op_sel_hi:[0,1]
	v_pk_add_f16 v47, v47, v49 neg_lo:[0,1] neg_hi:[0,1]
	v_bfi_b32 v49, 0xffff, v59, v72
	v_bfi_b32 v50, 0xffff, v60, v73
	v_pk_add_f16 v27, v27, v30 op_sel_hi:[0,1]
	v_pk_fma_f16 v30, 0xb5acbbc4, v31, v33 op_sel_hi:[1,0,1]
	v_pk_mul_f16 v31, 0x33a8bb7b, v34 op_sel_hi:[1,0]
	v_add_f16_e32 v55, v25, v55
	v_pk_mul_f16 v81, 0x33a8ba95, v39 op_sel_hi:[1,0]
	v_pk_add_f16 v42, v42, v44
	v_pk_add_f16 v44, v46, v47
	v_pk_add_f16 v36, v49, v50 neg_lo:[0,1] neg_hi:[0,1]
	v_bfi_b32 v46, 0xffff, v61, v74
	v_bfi_b32 v47, 0xffff, v62, v77
	v_pk_add_f16 v27, v27, v30
	v_pk_fma_f16 v30, 0xbbc4b5ac, v32, v31 op_sel_hi:[1,0,1]
	v_pk_mul_f16 v31, 0xb94eb770, v37 op_sel_hi:[1,0]
	v_add_f16_e32 v55, v26, v55
	v_pk_mul_f16 v84, 0x3a95b94e, v41 op_sel_hi:[1,0]
	v_pk_add_f16 v33, v44, v36
	v_pk_add_f16 v36, v46, v47 neg_lo:[0,1] neg_hi:[0,1]
	v_bfi_b32 v32, 0xffff, v63, v78
	v_bfi_b32 v37, 0xffff, v64, v81
	v_pk_add_f16 v27, v27, v30
	v_pk_fma_f16 v30, 0xb9fd3b15, v35, v31 op_sel_hi:[1,0,1]
	v_pk_mul_f16 v31, 0xbbf13a95, v39 op_sel_hi:[1,0]
	v_add_f16_e32 v55, v28, v55
	v_pk_add_f16 v36, v33, v36
	v_pk_add_f16 v32, v32, v37 neg_lo:[0,1] neg_hi:[0,1]
	v_bfi_b32 v35, 0xffff, v65, v82
	v_bfi_b32 v37, 0xffff, v66, v84
	v_pk_add_f16 v27, v27, v30
	v_pk_fma_f16 v30, 0x2fb7388b, v38, v31 op_sel_hi:[1,0,1]
	v_pk_mul_f16 v31, 0xb770394e, v41 op_sel_hi:[1,0]
	v_add_f16_e32 v55, v29, v55
	v_pk_add_f16 v34, v42, v43
	v_pk_add_f16 v36, v36, v32
	v_pk_add_f16 v35, v35, v37 neg_lo:[0,1] neg_hi:[0,1]
	v_pk_add_f16 v27, v27, v30
	v_pk_fma_f16 v37, 0x3b15b9fd, v40, v31 op_sel_hi:[1,0,1]
	v_fmamk_f16 v80, v41, 0x33a8, v86
	v_mad_u32_u24 v87, v2, 26, 0
	v_alignbit_b32 v33, v3, v34, 16
	v_alignbit_b32 v31, v45, v48, 16
	;; [unrolled: 1-line block ×3, first 2 shown]
	v_pack_b32_f16 v30, v55, v48
	v_pk_add_f16 v34, v35, v36
	v_pk_add_f16 v35, v37, v27
	v_add_f16_e32 v27, v80, v75
	ds_store_b128 v87, v[30:33]
	ds_store_b64 v87, v[34:35] offset:16
	ds_store_b16 v87, v27 offset:24
.LBB0_13:
	s_wait_alu 0xfffe
	s_or_b32 exec_lo, exec_lo, s1
	v_sub_f16_e32 v37, v22, v29
	v_add_f16_e32 v32, v18, v4
	v_sub_f16_e32 v36, v23, v28
	v_add_f16_e32 v33, v17, v6
	v_sub_f16_e32 v40, v20, v26
	v_pk_mul_f16 v27, 0xb3a8b94e, v37 op_sel_hi:[1,0]
	v_add_f16_e32 v34, v16, v7
	v_pk_mul_f16 v26, 0x37703bf1, v36 op_sel_hi:[1,0]
	v_sub_f16_e32 v41, v12, v24
	v_pk_mul_f16 v28, 0xb94eba95, v40 op_sel_hi:[1,0]
	v_pk_fma_f16 v20, 0xbbc4b9fd, v32, v27 op_sel_hi:[1,0,1]
	v_sub_f16_e32 v39, v21, v25
	v_pk_fma_f16 v12, 0x3b152fb7, v33, v26 op_sel_hi:[1,0,1]
	v_sub_f16_e32 v42, v5, v19
	v_pk_fma_f16 v19, 0xb9fd388b, v34, v28 op_sel_hi:[1,0,1]
	v_pk_add_f16 v20, v13, v20 op_sel_hi:[0,1]
	v_lshl_add_u32 v5, v2, 1, 0
	v_add_f16_e32 v35, v15, v8
	global_wb scope:SCOPE_SE
	s_wait_dscnt 0x0
	v_pk_mul_f16 v29, 0x3a9533a8, v39 op_sel_hi:[1,0]
	v_pk_add_f16 v12, v20, v12
	s_barrier_signal -1
	s_barrier_wait -1
	global_inv scope:SCOPE_SE
	v_add_f16_e32 v38, v14, v9
	v_pk_add_f16 v12, v12, v19
	ds_load_u16 v19, v5
	ds_load_u16 v25, v5 offset:208
	ds_load_u16 v24, v5 offset:416
	;; [unrolled: 1-line block ×6, first 2 shown]
	v_pk_mul_f16 v30, 0xbb7b3770, v41 op_sel_hi:[1,0]
	v_pk_fma_f16 v31, 0x388bbbc4, v35, v29 op_sel_hi:[1,0,1]
	v_add_f16_e32 v43, v11, v10
	global_wb scope:SCOPE_SE
	s_wait_dscnt 0x0
	s_barrier_signal -1
	v_pk_fma_f16 v44, 0xb5ac3b15, v38, v30 op_sel_hi:[1,0,1]
	v_pk_add_f16 v12, v12, v31
	v_pk_mul_f16 v31, 0x3bf1bb7b, v42 op_sel_hi:[1,0]
	s_barrier_wait -1
	global_inv scope:SCOPE_SE
	v_pk_add_f16 v12, v12, v44
	v_pk_fma_f16 v44, 0x2fb7b5ac, v43, v31 op_sel_hi:[1,0,1]
	s_delay_alu instid0(VALU_DEP_1)
	v_pk_add_f16 v12, v44, v12
	s_and_saveexec_b32 s1, s0
	s_cbranch_execz .LBB0_15
; %bb.14:
	v_add_f16_e32 v18, v13, v18
	v_pack_b32_f16 v37, v37, v37
	v_pack_b32_f16 v44, v32, v32
	v_perm_b32 v13, v13, v13, 0x5040100
	v_pack_b32_f16 v45, v33, v33
	v_add_f16_e32 v17, v18, v17
	v_pack_b32_f16 v18, v36, v36
	v_pack_b32_f16 v40, v40, v40
	;; [unrolled: 1-line block ×4, first 2 shown]
	v_add_f16_e32 v16, v17, v16
	v_pack_b32_f16 v17, v39, v39
	v_pack_b32_f16 v39, v38, v38
	;; [unrolled: 1-line block ×4, first 2 shown]
	v_add_f16_e32 v15, v16, v15
	v_pack_b32_f16 v16, v42, v42
	v_pk_mul_f16 v42, 0xba95b770, v37
	v_pk_mul_f16 v48, 0x394ebb7b, v17
	;; [unrolled: 1-line block ×3, first 2 shown]
	v_add_f16_e32 v14, v15, v14
	v_pk_mul_f16 v15, 0x388bbbc4, v35 op_sel_hi:[1,0]
	v_pk_fma_f16 v50, 0x388b3b15, v44, v42 neg_lo:[0,0,1] neg_hi:[0,0,1]
	v_pk_fma_f16 v42, 0x388b3b15, v44, v42
	v_pk_mul_f16 v35, 0xb5ac3b15, v38 op_sel_hi:[1,0]
	v_add_f16_e32 v11, v14, v11
	v_pk_mul_f16 v14, 0xbb7bba95, v18
	v_pk_mul_f16 v38, 0x2fb7b5ac, v43 op_sel_hi:[1,0]
	v_pk_mul_f16 v43, 0xb3a8bbf1, v40
	v_pk_add_f16 v50, v13, v50
	v_add_f16_e32 v10, v11, v10
	v_pk_add_f16 v42, v13, v42
	v_pk_mul_f16 v49, 0x3bf1b94e, v41
	v_pk_mul_f16 v32, 0xbbc4b9fd, v32 op_sel_hi:[1,0]
	v_pk_mul_f16 v33, 0x3b152fb7, v33 op_sel_hi:[1,0]
	v_add_f16_e32 v9, v10, v9
	v_pk_fma_f16 v10, 0xb5ac388b, v45, v14 neg_lo:[0,0,1] neg_hi:[0,0,1]
	v_pk_fma_f16 v14, 0xb5ac388b, v45, v14
	v_pk_mul_f16 v17, 0xbbf13770, v17
	v_pk_mul_f16 v34, 0xb9fd388b, v34 op_sel_hi:[1,0]
	v_add_f16_e32 v8, v8, v9
	v_pk_fma_f16 v9, 0xbbc42fb7, v36, v43 neg_lo:[0,0,1] neg_hi:[0,0,1]
	v_pk_fma_f16 v43, 0xbbc42fb7, v36, v43
	v_pk_add_f16 v10, v50, v10
	v_pk_add_f16 v14, v42, v14
	v_add_f16_e32 v7, v7, v8
	v_pk_fma_f16 v8, 0xb9fdb5ac, v46, v48 neg_lo:[0,0,1] neg_hi:[0,0,1]
	v_pk_fma_f16 v42, 0xb9fdb5ac, v46, v48
	v_pk_add_f16 v9, v10, v9
	v_pk_add_f16 v10, v14, v43
	;; [unrolled: 5-line block ×3, first 2 shown]
	v_add_f16_e32 v4, v4, v6
	v_pk_mul_f16 v6, 0x394eb3a8, v18
	v_pk_fma_f16 v10, 0x2fb7b9fd, v39, v49
	v_pk_add_f16 v14, v13, v14
	v_pk_add_f16 v15, v15, v29 neg_lo:[0,1] neg_hi:[0,1]
	v_pk_mul_f16 v11, 0x3770b3a8, v16
	v_pk_fma_f16 v18, 0xb9fdbbc4, v45, v6 neg_lo:[0,0,1] neg_hi:[0,0,1]
	v_pk_add_f16 v9, v9, v10
	v_pk_mul_f16 v10, 0x37703b7b, v40
	v_pk_fma_f16 v6, 0xb9fdbbc4, v45, v6
	v_pk_fma_f16 v7, 0x2fb7b9fd, v39, v49 neg_lo:[0,0,1] neg_hi:[0,0,1]
	v_pk_add_f16 v14, v14, v18
	v_pk_add_f16 v18, v32, v27 neg_lo:[0,1] neg_hi:[0,1]
	v_pk_fma_f16 v27, 0x3b15b5ac, v36, v10 neg_lo:[0,0,1] neg_hi:[0,0,1]
	v_pk_add_f16 v32, v13, v37
	v_pk_fma_f16 v10, 0x3b15b5ac, v36, v10
	v_pk_mul_f16 v16, 0x3a95b94e, v16
	v_pk_add_f16 v13, v13, v18
	v_pk_add_f16 v18, v33, v26 neg_lo:[0,1] neg_hi:[0,1]
	v_pk_add_f16 v14, v14, v27
	v_pk_fma_f16 v26, 0x2fb73b15, v46, v17 neg_lo:[0,0,1] neg_hi:[0,0,1]
	v_pk_add_f16 v6, v32, v6
	v_pk_add_f16 v7, v8, v7
	;; [unrolled: 1-line block ×3, first 2 shown]
	v_pk_add_f16 v18, v34, v28 neg_lo:[0,1] neg_hi:[0,1]
	v_pk_add_f16 v14, v14, v26
	v_pk_mul_f16 v26, 0x33a8ba95, v41
	v_pk_add_f16 v6, v6, v10
	v_pk_fma_f16 v10, 0x2fb73b15, v46, v17
	v_pk_add_f16 v13, v13, v18
	v_pk_fma_f16 v8, 0x3b15bbc4, v47, v11 neg_lo:[0,0,1] neg_hi:[0,0,1]
	v_pk_fma_f16 v17, 0xbbc4388b, v39, v26 neg_lo:[0,0,1] neg_hi:[0,0,1]
	v_pk_fma_f16 v11, 0x3b15bbc4, v47, v11
	v_pk_add_f16 v6, v6, v10
	v_pk_fma_f16 v10, 0xbbc4388b, v39, v26
	v_pk_add_f16 v13, v13, v15
	v_pk_add_f16 v15, v35, v30 neg_lo:[0,1] neg_hi:[0,1]
	v_pk_add_f16 v14, v14, v17
	v_pk_fma_f16 v17, 0x388bb9fd, v47, v16 neg_lo:[0,0,1] neg_hi:[0,0,1]
	v_pk_add_f16 v10, v6, v10
	v_pk_fma_f16 v16, 0x388bb9fd, v47, v16
	v_pk_add_f16 v13, v13, v15
	v_pk_add_f16 v15, v38, v31 neg_lo:[0,1] neg_hi:[0,1]
	v_pk_add_f16 v11, v11, v9
	v_pk_add_f16 v6, v8, v7
	;; [unrolled: 1-line block ×5, first 2 shown]
	v_mad_u32_u24 v13, v2, 24, v5
	v_alignbit_b32 v9, v12, v12, 16
	v_alignbit_b32 v10, v10, v10, 16
	;; [unrolled: 1-line block ×3, first 2 shown]
	ds_store_b16 v13, v4
	ds_store_b128 v13, v[6:9] offset:2
	ds_store_b64 v13, v[10:11] offset:18
.LBB0_15:
	s_wait_alu 0xfffe
	s_or_b32 exec_lo, exec_lo, s1
	v_and_b32_e32 v4, 0xff, v2
	global_wb scope:SCOPE_SE
	s_wait_dscnt 0x0
	s_barrier_signal -1
	s_barrier_wait -1
	global_inv scope:SCOPE_SE
	v_mul_lo_u16 v4, 0x4f, v4
	v_cmp_gt_u32_e64 s0, 0x5b, v2
	s_delay_alu instid0(VALU_DEP_2) | instskip(NEXT) | instid1(VALU_DEP_1)
	v_lshrrev_b16 v4, 10, v4
	v_mul_lo_u16 v6, v4, 13
	v_and_b32_e32 v4, 0xffff, v4
	s_delay_alu instid0(VALU_DEP_2) | instskip(NEXT) | instid1(VALU_DEP_2)
	v_sub_nc_u16 v6, v2, v6
	v_mul_u32_u24_e32 v4, 0xb6, v4
	s_delay_alu instid0(VALU_DEP_2) | instskip(NEXT) | instid1(VALU_DEP_1)
	v_and_b32_e32 v13, 0xff, v6
	v_mul_u32_u24_e32 v6, 6, v13
	v_lshlrev_b32_e32 v14, 1, v13
	s_delay_alu instid0(VALU_DEP_2) | instskip(NEXT) | instid1(VALU_DEP_2)
	v_lshlrev_b32_e32 v10, 2, v6
	v_add3_u32 v26, 0, v4, v14
	s_clause 0x1
	global_load_b128 v[6:9], v10, s[4:5]
	global_load_b64 v[10:11], v10, s[4:5] offset:16
	ds_load_u16 v28, v5 offset:208
	ds_load_u16 v29, v5 offset:416
	ds_load_u16 v30, v5 offset:624
	ds_load_u16 v31, v5 offset:832
	ds_load_u16 v13, v5
	ds_load_u16 v32, v5 offset:1040
	ds_load_u16 v33, v5 offset:1248
	global_wb scope:SCOPE_SE
	s_wait_loadcnt_dscnt 0x0
	s_barrier_signal -1
	s_barrier_wait -1
	global_inv scope:SCOPE_SE
	v_lshrrev_b32_e32 v4, 16, v6
	v_lshrrev_b32_e32 v16, 16, v7
	;; [unrolled: 1-line block ×6, first 2 shown]
	v_mul_f16_e32 v15, v28, v4
	v_mul_f16_e32 v14, v29, v16
	;; [unrolled: 1-line block ×12, first 2 shown]
	v_fmac_f16_e32 v15, v25, v6
	v_fmac_f16_e32 v14, v24, v7
	;; [unrolled: 1-line block ×4, first 2 shown]
	v_fma_f16 v25, v28, v6, -v4
	v_fma_f16 v24, v29, v7, -v35
	v_fmac_f16_e32 v16, v22, v8
	v_fma_f16 v22, v30, v8, -v36
	v_fmac_f16_e32 v17, v21, v9
	v_fma_f16 v23, v33, v11, -v34
	v_fma_f16 v20, v31, v9, -v37
	;; [unrolled: 1-line block ×3, first 2 shown]
	v_add_f16_e32 v4, v15, v27
	v_add_f16_e32 v6, v14, v18
	v_sub_f16_e32 v7, v25, v23
	v_add_f16_e32 v8, v16, v17
	v_sub_f16_e32 v9, v24, v21
	v_sub_f16_e32 v10, v20, v22
	v_add_f16_e32 v11, v6, v4
	v_sub_f16_e32 v28, v6, v4
	v_sub_f16_e32 v4, v4, v8
	;; [unrolled: 1-line block ×3, first 2 shown]
	v_add_f16_e32 v29, v10, v9
	v_sub_f16_e32 v30, v10, v9
	v_sub_f16_e32 v9, v9, v7
	v_add_f16_e32 v8, v8, v11
	v_sub_f16_e32 v10, v7, v10
	v_add_f16_e32 v7, v29, v7
	v_mul_f16_e32 v11, 0x3a52, v4
	v_mul_f16_e32 v29, 0x2b26, v6
	;; [unrolled: 1-line block ×4, first 2 shown]
	v_add_f16_e32 v4, v19, v8
	v_fmamk_f16 v6, v6, 0x2b26, v11
	v_fma_f16 v19, v28, 0x39e0, -v29
	v_fmamk_f16 v29, v10, 0xb574, v30
	v_fma_f16 v30, v9, 0xbb00, -v30
	v_fma_f16 v10, v10, 0x3574, -v31
	v_fmamk_f16 v8, v8, 0xbcab, v4
	v_fma_f16 v9, v28, 0xb9e0, -v11
	v_fmac_f16_e32 v29, 0xb70e, v7
	v_fmac_f16_e32 v30, 0xb70e, v7
	;; [unrolled: 1-line block ×3, first 2 shown]
	v_add_f16_e32 v28, v6, v8
	v_add_f16_e32 v31, v9, v8
	;; [unrolled: 1-line block ×3, first 2 shown]
	s_delay_alu instid0(VALU_DEP_3) | instskip(NEXT) | instid1(VALU_DEP_3)
	v_add_f16_e32 v7, v29, v28
	v_add_f16_e32 v6, v10, v31
	s_delay_alu instid0(VALU_DEP_3)
	v_sub_f16_e32 v9, v8, v30
	v_add_f16_e32 v11, v30, v8
	v_sub_f16_e32 v10, v31, v10
	v_sub_f16_e32 v8, v28, v29
	ds_store_b16 v26, v4
	ds_store_b16 v26, v7 offset:26
	ds_store_b16 v26, v6 offset:52
	;; [unrolled: 1-line block ×6, first 2 shown]
	global_wb scope:SCOPE_SE
	s_wait_dscnt 0x0
	s_barrier_signal -1
	s_barrier_wait -1
	global_inv scope:SCOPE_SE
	s_and_saveexec_b32 s1, s0
	s_cbranch_execz .LBB0_17
; %bb.16:
	ds_load_u16 v4, v5
	ds_load_u16 v7, v5 offset:182
	ds_load_u16 v6, v5 offset:364
	;; [unrolled: 1-line block ×7, first 2 shown]
.LBB0_17:
	s_wait_alu 0xfffe
	s_or_b32 exec_lo, exec_lo, s1
	v_add_f16_e32 v19, v25, v23
	v_add_f16_e32 v21, v24, v21
	v_sub_f16_e32 v15, v15, v27
	v_add_f16_e32 v20, v22, v20
	v_sub_f16_e32 v14, v14, v18
	v_sub_f16_e32 v16, v17, v16
	v_add_f16_e32 v17, v21, v19
	v_sub_f16_e32 v18, v21, v19
	v_sub_f16_e32 v19, v19, v20
	;; [unrolled: 1-line block ×3, first 2 shown]
	v_add_f16_e32 v22, v16, v14
	v_add_f16_e32 v17, v20, v17
	v_sub_f16_e32 v20, v16, v14
	v_sub_f16_e32 v14, v14, v15
	;; [unrolled: 1-line block ×3, first 2 shown]
	v_add_f16_e32 v15, v22, v15
	v_add_f16_e32 v13, v13, v17
	v_mul_f16_e32 v19, 0x3a52, v19
	v_mul_f16_e32 v22, 0x2b26, v21
	;; [unrolled: 1-line block ×4, first 2 shown]
	v_fmamk_f16 v17, v17, 0xbcab, v13
	v_fmamk_f16 v21, v21, 0x2b26, v19
	v_fma_f16 v22, v18, 0x39e0, -v22
	v_fma_f16 v18, v18, 0xb9e0, -v19
	v_fmamk_f16 v19, v16, 0xb574, v20
	v_fma_f16 v14, v14, 0xbb00, -v20
	v_fma_f16 v20, v16, 0x3574, -v23
	v_add_f16_e32 v21, v21, v17
	v_add_f16_e32 v22, v22, v17
	;; [unrolled: 1-line block ×3, first 2 shown]
	v_fmac_f16_e32 v19, 0xb70e, v15
	v_fmac_f16_e32 v20, 0xb70e, v15
	;; [unrolled: 1-line block ×3, first 2 shown]
	v_lshrrev_b32_e32 v12, 16, v12
	global_wb scope:SCOPE_SE
	s_wait_dscnt 0x0
	v_sub_f16_e32 v16, v21, v19
	v_sub_f16_e32 v17, v18, v20
	v_add_f16_e32 v15, v14, v22
	v_sub_f16_e32 v14, v22, v14
	v_add_f16_e32 v18, v20, v18
	v_add_f16_e32 v19, v19, v21
	s_barrier_signal -1
	s_barrier_wait -1
	global_inv scope:SCOPE_SE
	ds_store_b16 v26, v13
	ds_store_b16 v26, v16 offset:26
	ds_store_b16 v26, v17 offset:52
	;; [unrolled: 1-line block ×6, first 2 shown]
	global_wb scope:SCOPE_SE
	s_wait_dscnt 0x0
	s_barrier_signal -1
	s_barrier_wait -1
	global_inv scope:SCOPE_SE
	s_and_saveexec_b32 s1, s0
	s_cbranch_execnz .LBB0_20
; %bb.18:
	s_wait_alu 0xfffe
	s_or_b32 exec_lo, exec_lo, s1
	s_and_b32 s0, vcc_lo, s0
	s_wait_alu 0xfffe
	s_and_saveexec_b32 s1, s0
	s_cbranch_execnz .LBB0_21
.LBB0_19:
	s_endpgm
.LBB0_20:
	ds_load_u16 v13, v5
	ds_load_u16 v16, v5 offset:182
	ds_load_u16 v17, v5 offset:364
	;; [unrolled: 1-line block ×7, first 2 shown]
	s_wait_alu 0xfffe
	s_or_b32 exec_lo, exec_lo, s1
	s_and_b32 s0, vcc_lo, s0
	s_wait_alu 0xfffe
	s_and_saveexec_b32 s1, s0
	s_cbranch_execz .LBB0_19
.LBB0_21:
	v_mul_u32_u24_e32 v5, 7, v2
	v_mad_co_u64_u32 v[27:28], null, s8, v2, 0
	v_add_nc_u32_e32 v44, 0xb6, v2
	v_add_nc_u32_e32 v48, 0x222, v2
	v_add_nc_u32_e32 v46, 0x16c, v2
	v_add_nc_u32_e32 v51, 0x27d, v2
	v_add_co_u32 v49, vcc_lo, s10, v0
	v_mad_co_u64_u32 v[29:30], null, s8, v44, 0
	v_lshlrev_b32_e32 v5, 2, v5
	s_clause 0x1
	global_load_b128 v[20:23], v5, s[4:5] offset:312
	global_load_b96 v[24:26], v5, s[4:5] offset:328
	v_mad_co_u64_u32 v[37:38], null, s8, v48, 0
	v_add_nc_u32_e32 v47, 0x1c7, v2
	v_mad_co_u64_u32 v[33:34], null, s8, v46, 0
	v_mov_b32_e32 v5, v28
	v_add_nc_u32_e32 v43, 0x5b, v2
	s_delay_alu instid0(VALU_DEP_4) | instskip(SKIP_1) | instid1(VALU_DEP_4)
	v_mad_co_u64_u32 v[35:36], null, s8, v47, 0
	v_add_nc_u32_e32 v45, 0x111, v2
	v_mad_co_u64_u32 v[41:42], null, s9, v2, v[5:6]
	v_mov_b32_e32 v2, v30
	s_wait_alu 0xfffd
	v_add_co_ci_u32_e32 v50, vcc_lo, s11, v1, vcc_lo
	v_mov_b32_e32 v30, v36
	v_mad_co_u64_u32 v[31:32], null, s8, v45, 0
	v_mov_b32_e32 v28, v34
	v_mad_co_u64_u32 v[0:1], null, s8, v43, 0
	v_mad_co_u64_u32 v[39:40], null, s8, v51, 0
	s_delay_alu instid0(VALU_DEP_4) | instskip(NEXT) | instid1(VALU_DEP_3)
	v_dual_mov_b32 v5, v32 :: v_dual_mov_b32 v32, v38
	v_mad_co_u64_u32 v[42:43], null, s9, v43, v[1:2]
	v_mad_co_u64_u32 v[43:44], null, s9, v44, v[2:3]
	s_delay_alu instid0(VALU_DEP_3)
	v_mad_co_u64_u32 v[44:45], null, s9, v45, v[5:6]
	v_mov_b32_e32 v34, v40
	v_mad_co_u64_u32 v[45:46], null, s9, v46, v[28:29]
	v_mad_co_u64_u32 v[46:47], null, s9, v47, v[30:31]
	v_dual_mov_b32 v28, v41 :: v_dual_mov_b32 v1, v42
	v_mad_co_u64_u32 v[40:41], null, s9, v48, v[32:33]
	v_mad_co_u64_u32 v[47:48], null, s9, v51, v[34:35]
	v_mov_b32_e32 v30, v43
	v_mov_b32_e32 v32, v44
	;; [unrolled: 1-line block ×5, first 2 shown]
	v_lshlrev_b64_e32 v[27:28], 2, v[27:28]
	v_mov_b32_e32 v40, v47
	v_lshlrev_b64_e32 v[0:1], 2, v[0:1]
	v_lshlrev_b64_e32 v[29:30], 2, v[29:30]
	;; [unrolled: 1-line block ×4, first 2 shown]
	v_add_co_u32 v27, vcc_lo, v49, v27
	s_wait_alu 0xfffd
	v_add_co_ci_u32_e32 v28, vcc_lo, v50, v28, vcc_lo
	v_add_co_u32 v0, vcc_lo, v49, v0
	s_wait_alu 0xfffd
	v_add_co_ci_u32_e32 v1, vcc_lo, v50, v1, vcc_lo
	;; [unrolled: 3-line block ×3, first 2 shown]
	v_lshlrev_b64_e32 v[35:36], 2, v[35:36]
	v_add_co_u32 v31, vcc_lo, v49, v31
	s_wait_alu 0xfffd
	v_add_co_ci_u32_e32 v32, vcc_lo, v50, v32, vcc_lo
	v_lshlrev_b64_e32 v[37:38], 2, v[37:38]
	v_add_co_u32 v33, vcc_lo, v49, v33
	s_wait_alu 0xfffd
	v_add_co_ci_u32_e32 v34, vcc_lo, v50, v34, vcc_lo
	;; [unrolled: 4-line block ×3, first 2 shown]
	v_add_co_u32 v37, vcc_lo, v49, v37
	s_wait_alu 0xfffd
	v_add_co_ci_u32_e32 v38, vcc_lo, v50, v38, vcc_lo
	s_wait_loadcnt 0x1
	v_lshrrev_b32_e32 v2, 16, v20
	v_lshrrev_b32_e32 v5, 16, v21
	;; [unrolled: 1-line block ×4, first 2 shown]
	s_wait_loadcnt 0x0
	v_lshrrev_b32_e32 v43, 16, v25
	v_lshrrev_b32_e32 v44, 16, v24
	;; [unrolled: 1-line block ×3, first 2 shown]
	s_wait_dscnt 0x3
	v_mul_f16_e32 v46, v14, v41
	v_mul_f16_e32 v47, v6, v5
	;; [unrolled: 1-line block ×6, first 2 shown]
	s_wait_dscnt 0x0
	v_mul_f16_e32 v54, v12, v45
	v_mul_f16_e32 v55, v16, v2
	;; [unrolled: 1-line block ×8, first 2 shown]
	v_fmac_f16_e32 v46, v11, v23
	v_fma_f16 v11, v17, v21, -v47
	v_fma_f16 v17, v19, v25, -v48
	;; [unrolled: 1-line block ×4, first 2 shown]
	v_fmac_f16_e32 v53, v9, v22
	v_fmac_f16_e32 v54, v3, v26
	;; [unrolled: 1-line block ×4, first 2 shown]
	v_fma_f16 v7, v15, v22, -v42
	v_fma_f16 v3, v12, v26, -v44
	;; [unrolled: 1-line block ×3, first 2 shown]
	v_fmac_f16_e32 v5, v6, v21
	v_fmac_f16_e32 v43, v8, v25
	v_sub_f16_e32 v6, v4, v46
	v_sub_f16_e32 v8, v11, v17
	;; [unrolled: 1-line block ×8, first 2 shown]
	v_add_f16_e32 v18, v6, v8
	v_sub_f16_e32 v19, v10, v12
	v_add_f16_e32 v20, v14, v15
	v_fma_f16 v4, v4, 2.0, -v6
	v_sub_f16_e32 v21, v9, v17
	v_fma_f16 v5, v5, 2.0, -v17
	v_fma_f16 v16, v16, 2.0, -v10
	;; [unrolled: 1-line block ×7, first 2 shown]
	v_fmamk_f16 v15, v20, 0x39a8, v18
	v_fmamk_f16 v17, v19, 0x39a8, v21
	v_sub_f16_e32 v5, v4, v5
	v_sub_f16_e32 v7, v16, v7
	;; [unrolled: 1-line block ×4, first 2 shown]
	v_fma_f16 v6, v6, 2.0, -v18
	v_fma_f16 v14, v14, 2.0, -v20
	;; [unrolled: 1-line block ×4, first 2 shown]
	v_fmac_f16_e32 v15, 0x39a8, v19
	v_fmac_f16_e32 v17, 0xb9a8, v20
	v_add_f16_e32 v19, v5, v7
	v_sub_f16_e32 v20, v8, v12
	v_fmamk_f16 v22, v14, 0xb9a8, v6
	v_fma_f16 v4, v4, 2.0, -v5
	v_fma_f16 v11, v11, 2.0, -v12
	;; [unrolled: 1-line block ×4, first 2 shown]
	v_fmamk_f16 v23, v10, 0xb9a8, v9
	v_fmac_f16_e32 v22, 0x39a8, v10
	v_sub_f16_e32 v10, v4, v11
	v_fma_f16 v5, v5, 2.0, -v19
	v_sub_f16_e32 v7, v12, v7
	v_fmac_f16_e32 v23, 0xb9a8, v14
	v_fma_f16 v6, v6, 2.0, -v22
	v_fma_f16 v4, v4, 2.0, -v10
	;; [unrolled: 1-line block ×7, first 2 shown]
	v_pack_b32_f16 v5, v5, v8
	v_pack_b32_f16 v4, v4, v11
	;; [unrolled: 1-line block ×3, first 2 shown]
	v_add_co_u32 v2, vcc_lo, v49, v39
	v_pack_b32_f16 v8, v13, v16
	v_pack_b32_f16 v7, v10, v7
	s_wait_alu 0xfffd
	v_add_co_ci_u32_e32 v3, vcc_lo, v50, v40, vcc_lo
	v_pack_b32_f16 v12, v19, v20
	v_pack_b32_f16 v14, v15, v17
	;; [unrolled: 1-line block ×3, first 2 shown]
	s_clause 0x7
	global_store_b32 v[27:28], v4, off
	global_store_b32 v[0:1], v6, off
	;; [unrolled: 1-line block ×8, first 2 shown]
	s_nop 0
	s_sendmsg sendmsg(MSG_DEALLOC_VGPRS)
	s_endpgm
	.section	.rodata,"a",@progbits
	.p2align	6, 0x0
	.amdhsa_kernel fft_rtc_back_len728_factors_13_7_8_wgs_104_tpt_104_halfLds_half_ip_CI_sbrr_dirReg
		.amdhsa_group_segment_fixed_size 0
		.amdhsa_private_segment_fixed_size 0
		.amdhsa_kernarg_size 88
		.amdhsa_user_sgpr_count 2
		.amdhsa_user_sgpr_dispatch_ptr 0
		.amdhsa_user_sgpr_queue_ptr 0
		.amdhsa_user_sgpr_kernarg_segment_ptr 1
		.amdhsa_user_sgpr_dispatch_id 0
		.amdhsa_user_sgpr_private_segment_size 0
		.amdhsa_wavefront_size32 1
		.amdhsa_uses_dynamic_stack 0
		.amdhsa_enable_private_segment 0
		.amdhsa_system_sgpr_workgroup_id_x 1
		.amdhsa_system_sgpr_workgroup_id_y 0
		.amdhsa_system_sgpr_workgroup_id_z 0
		.amdhsa_system_sgpr_workgroup_info 0
		.amdhsa_system_vgpr_workitem_id 0
		.amdhsa_next_free_vgpr 88
		.amdhsa_next_free_sgpr 35
		.amdhsa_reserve_vcc 1
		.amdhsa_float_round_mode_32 0
		.amdhsa_float_round_mode_16_64 0
		.amdhsa_float_denorm_mode_32 3
		.amdhsa_float_denorm_mode_16_64 3
		.amdhsa_fp16_overflow 0
		.amdhsa_workgroup_processor_mode 1
		.amdhsa_memory_ordered 1
		.amdhsa_forward_progress 0
		.amdhsa_round_robin_scheduling 0
		.amdhsa_exception_fp_ieee_invalid_op 0
		.amdhsa_exception_fp_denorm_src 0
		.amdhsa_exception_fp_ieee_div_zero 0
		.amdhsa_exception_fp_ieee_overflow 0
		.amdhsa_exception_fp_ieee_underflow 0
		.amdhsa_exception_fp_ieee_inexact 0
		.amdhsa_exception_int_div_zero 0
	.end_amdhsa_kernel
	.text
.Lfunc_end0:
	.size	fft_rtc_back_len728_factors_13_7_8_wgs_104_tpt_104_halfLds_half_ip_CI_sbrr_dirReg, .Lfunc_end0-fft_rtc_back_len728_factors_13_7_8_wgs_104_tpt_104_halfLds_half_ip_CI_sbrr_dirReg
                                        ; -- End function
	.section	.AMDGPU.csdata,"",@progbits
; Kernel info:
; codeLenInByte = 7928
; NumSgprs: 37
; NumVgprs: 88
; ScratchSize: 0
; MemoryBound: 0
; FloatMode: 240
; IeeeMode: 1
; LDSByteSize: 0 bytes/workgroup (compile time only)
; SGPRBlocks: 4
; VGPRBlocks: 10
; NumSGPRsForWavesPerEU: 37
; NumVGPRsForWavesPerEU: 88
; Occupancy: 16
; WaveLimiterHint : 1
; COMPUTE_PGM_RSRC2:SCRATCH_EN: 0
; COMPUTE_PGM_RSRC2:USER_SGPR: 2
; COMPUTE_PGM_RSRC2:TRAP_HANDLER: 0
; COMPUTE_PGM_RSRC2:TGID_X_EN: 1
; COMPUTE_PGM_RSRC2:TGID_Y_EN: 0
; COMPUTE_PGM_RSRC2:TGID_Z_EN: 0
; COMPUTE_PGM_RSRC2:TIDIG_COMP_CNT: 0
	.text
	.p2alignl 7, 3214868480
	.fill 96, 4, 3214868480
	.type	__hip_cuid_a008f1df871a9aea,@object ; @__hip_cuid_a008f1df871a9aea
	.section	.bss,"aw",@nobits
	.globl	__hip_cuid_a008f1df871a9aea
__hip_cuid_a008f1df871a9aea:
	.byte	0                               ; 0x0
	.size	__hip_cuid_a008f1df871a9aea, 1

	.ident	"AMD clang version 19.0.0git (https://github.com/RadeonOpenCompute/llvm-project roc-6.4.0 25133 c7fe45cf4b819c5991fe208aaa96edf142730f1d)"
	.section	".note.GNU-stack","",@progbits
	.addrsig
	.addrsig_sym __hip_cuid_a008f1df871a9aea
	.amdgpu_metadata
---
amdhsa.kernels:
  - .args:
      - .actual_access:  read_only
        .address_space:  global
        .offset:         0
        .size:           8
        .value_kind:     global_buffer
      - .offset:         8
        .size:           8
        .value_kind:     by_value
      - .actual_access:  read_only
        .address_space:  global
        .offset:         16
        .size:           8
        .value_kind:     global_buffer
      - .actual_access:  read_only
        .address_space:  global
        .offset:         24
        .size:           8
        .value_kind:     global_buffer
      - .offset:         32
        .size:           8
        .value_kind:     by_value
      - .actual_access:  read_only
        .address_space:  global
        .offset:         40
        .size:           8
        .value_kind:     global_buffer
      - .actual_access:  read_only
        .address_space:  global
        .offset:         48
        .size:           8
        .value_kind:     global_buffer
      - .offset:         56
        .size:           4
        .value_kind:     by_value
      - .actual_access:  read_only
        .address_space:  global
        .offset:         64
        .size:           8
        .value_kind:     global_buffer
      - .actual_access:  read_only
        .address_space:  global
        .offset:         72
        .size:           8
        .value_kind:     global_buffer
      - .address_space:  global
        .offset:         80
        .size:           8
        .value_kind:     global_buffer
    .group_segment_fixed_size: 0
    .kernarg_segment_align: 8
    .kernarg_segment_size: 88
    .language:       OpenCL C
    .language_version:
      - 2
      - 0
    .max_flat_workgroup_size: 104
    .name:           fft_rtc_back_len728_factors_13_7_8_wgs_104_tpt_104_halfLds_half_ip_CI_sbrr_dirReg
    .private_segment_fixed_size: 0
    .sgpr_count:     37
    .sgpr_spill_count: 0
    .symbol:         fft_rtc_back_len728_factors_13_7_8_wgs_104_tpt_104_halfLds_half_ip_CI_sbrr_dirReg.kd
    .uniform_work_group_size: 1
    .uses_dynamic_stack: false
    .vgpr_count:     88
    .vgpr_spill_count: 0
    .wavefront_size: 32
    .workgroup_processor_mode: 1
amdhsa.target:   amdgcn-amd-amdhsa--gfx1201
amdhsa.version:
  - 1
  - 2
...

	.end_amdgpu_metadata
